;; amdgpu-corpus repo=zjin-lcf/HeCBench kind=compiled arch=gfx906 opt=O3
	.amdgcn_target "amdgcn-amd-amdhsa--gfx906"
	.amdhsa_code_object_version 6
	.text
	.protected	_Z19silu_forward_kernelPKfPfm ; -- Begin function _Z19silu_forward_kernelPKfPfm
	.globl	_Z19silu_forward_kernelPKfPfm
	.p2align	8
	.type	_Z19silu_forward_kernelPKfPfm,@function
_Z19silu_forward_kernelPKfPfm:          ; @_Z19silu_forward_kernelPKfPfm
; %bb.0:
	s_load_dword s2, s[4:5], 0x24
	s_load_dwordx2 s[0:1], s[4:5], 0x10
	v_mov_b32_e32 v1, 0
	v_mov_b32_e32 v2, s6
	s_waitcnt lgkmcnt(0)
	s_and_b32 s2, s2, 0xffff
	v_mad_u64_u32 v[0:1], s[2:3], s2, v2, v[0:1]
	v_cmp_gt_u64_e32 vcc, s[0:1], v[0:1]
	s_and_saveexec_b64 s[0:1], vcc
	s_cbranch_execz .LBB0_2
; %bb.1:
	s_load_dwordx4 s[0:3], s[4:5], 0x0
	v_lshlrev_b64 v[0:1], 2, v[0:1]
	s_waitcnt lgkmcnt(0)
	v_mov_b32_e32 v3, s1
	v_add_co_u32_e32 v2, vcc, s0, v0
	v_addc_co_u32_e32 v3, vcc, v3, v1, vcc
	global_load_dword v2, v[2:3], off
	s_mov_b32 s0, 0xbfb8aa3b
	s_mov_b32 s1, 0xc2b17218
	s_waitcnt vmcnt(0)
	v_mul_f32_e32 v3, 0xbfb8aa3b, v2
	v_fma_f32 v4, v2, s0, -v3
	v_rndne_f32_e32 v5, v3
	v_fmac_f32_e32 v4, 0xb2a5705f, v2
	v_sub_f32_e32 v3, v3, v5
	v_add_f32_e32 v3, v3, v4
	v_cvt_i32_f32_e32 v5, v5
	v_exp_f32_e32 v3, v3
	s_mov_b32 s0, 0x42ce8ed0
	v_cmp_nlt_f32_e32 vcc, s0, v2
	v_mov_b32_e32 v4, 0x7f800000
	v_ldexp_f32 v3, v3, v5
	v_cndmask_b32_e32 v3, 0, v3, vcc
	v_cmp_ngt_f32_e32 vcc, s1, v2
	v_cndmask_b32_e32 v3, v4, v3, vcc
	v_add_f32_e32 v3, 1.0, v3
	v_div_scale_f32 v4, s[0:1], v3, v3, v2
	v_div_scale_f32 v5, vcc, v2, v3, v2
	v_rcp_f32_e32 v6, v4
	v_fma_f32 v7, -v4, v6, 1.0
	v_fmac_f32_e32 v6, v7, v6
	v_mul_f32_e32 v7, v5, v6
	v_fma_f32 v8, -v4, v7, v5
	v_fmac_f32_e32 v7, v8, v6
	v_fma_f32 v4, -v4, v7, v5
	v_div_fmas_f32 v4, v4, v6, v7
	v_mov_b32_e32 v5, s3
	v_add_co_u32_e32 v0, vcc, s2, v0
	v_addc_co_u32_e32 v1, vcc, v5, v1, vcc
	v_div_fixup_f32 v2, v4, v3, v2
	global_store_dword v[0:1], v2, off
.LBB0_2:
	s_endpgm
	.section	.rodata,"a",@progbits
	.p2align	6, 0x0
	.amdhsa_kernel _Z19silu_forward_kernelPKfPfm
		.amdhsa_group_segment_fixed_size 0
		.amdhsa_private_segment_fixed_size 0
		.amdhsa_kernarg_size 280
		.amdhsa_user_sgpr_count 6
		.amdhsa_user_sgpr_private_segment_buffer 1
		.amdhsa_user_sgpr_dispatch_ptr 0
		.amdhsa_user_sgpr_queue_ptr 0
		.amdhsa_user_sgpr_kernarg_segment_ptr 1
		.amdhsa_user_sgpr_dispatch_id 0
		.amdhsa_user_sgpr_flat_scratch_init 0
		.amdhsa_user_sgpr_private_segment_size 0
		.amdhsa_uses_dynamic_stack 0
		.amdhsa_system_sgpr_private_segment_wavefront_offset 0
		.amdhsa_system_sgpr_workgroup_id_x 1
		.amdhsa_system_sgpr_workgroup_id_y 0
		.amdhsa_system_sgpr_workgroup_id_z 0
		.amdhsa_system_sgpr_workgroup_info 0
		.amdhsa_system_vgpr_workitem_id 0
		.amdhsa_next_free_vgpr 9
		.amdhsa_next_free_sgpr 7
		.amdhsa_reserve_vcc 1
		.amdhsa_reserve_flat_scratch 0
		.amdhsa_float_round_mode_32 0
		.amdhsa_float_round_mode_16_64 0
		.amdhsa_float_denorm_mode_32 3
		.amdhsa_float_denorm_mode_16_64 3
		.amdhsa_dx10_clamp 1
		.amdhsa_ieee_mode 1
		.amdhsa_fp16_overflow 0
		.amdhsa_exception_fp_ieee_invalid_op 0
		.amdhsa_exception_fp_denorm_src 0
		.amdhsa_exception_fp_ieee_div_zero 0
		.amdhsa_exception_fp_ieee_overflow 0
		.amdhsa_exception_fp_ieee_underflow 0
		.amdhsa_exception_fp_ieee_inexact 0
		.amdhsa_exception_int_div_zero 0
	.end_amdhsa_kernel
	.text
.Lfunc_end0:
	.size	_Z19silu_forward_kernelPKfPfm, .Lfunc_end0-_Z19silu_forward_kernelPKfPfm
                                        ; -- End function
	.set _Z19silu_forward_kernelPKfPfm.num_vgpr, 9
	.set _Z19silu_forward_kernelPKfPfm.num_agpr, 0
	.set _Z19silu_forward_kernelPKfPfm.numbered_sgpr, 7
	.set _Z19silu_forward_kernelPKfPfm.num_named_barrier, 0
	.set _Z19silu_forward_kernelPKfPfm.private_seg_size, 0
	.set _Z19silu_forward_kernelPKfPfm.uses_vcc, 1
	.set _Z19silu_forward_kernelPKfPfm.uses_flat_scratch, 0
	.set _Z19silu_forward_kernelPKfPfm.has_dyn_sized_stack, 0
	.set _Z19silu_forward_kernelPKfPfm.has_recursion, 0
	.set _Z19silu_forward_kernelPKfPfm.has_indirect_call, 0
	.section	.AMDGPU.csdata,"",@progbits
; Kernel info:
; codeLenInByte = 300
; TotalNumSgprs: 11
; NumVgprs: 9
; ScratchSize: 0
; MemoryBound: 0
; FloatMode: 240
; IeeeMode: 1
; LDSByteSize: 0 bytes/workgroup (compile time only)
; SGPRBlocks: 1
; VGPRBlocks: 2
; NumSGPRsForWavesPerEU: 11
; NumVGPRsForWavesPerEU: 9
; Occupancy: 10
; WaveLimiterHint : 0
; COMPUTE_PGM_RSRC2:SCRATCH_EN: 0
; COMPUTE_PGM_RSRC2:USER_SGPR: 6
; COMPUTE_PGM_RSRC2:TRAP_HANDLER: 0
; COMPUTE_PGM_RSRC2:TGID_X_EN: 1
; COMPUTE_PGM_RSRC2:TGID_Y_EN: 0
; COMPUTE_PGM_RSRC2:TGID_Z_EN: 0
; COMPUTE_PGM_RSRC2:TIDIG_COMP_CNT: 0
	.text
	.protected	_Z20silu_forward_kernel2PKfPfm ; -- Begin function _Z20silu_forward_kernel2PKfPfm
	.globl	_Z20silu_forward_kernel2PKfPfm
	.p2align	8
	.type	_Z20silu_forward_kernel2PKfPfm,@function
_Z20silu_forward_kernel2PKfPfm:         ; @_Z20silu_forward_kernel2PKfPfm
; %bb.0:
	s_load_dword s0, s[4:5], 0x24
	s_load_dwordx2 s[8:9], s[4:5], 0x10
	v_mov_b32_e32 v1, 0
	v_mov_b32_e32 v2, s6
	s_load_dwordx4 s[4:7], s[4:5], 0x0
	s_waitcnt lgkmcnt(0)
	s_and_b32 s12, s0, 0xffff
	v_mad_u64_u32 v[4:5], s[0:1], s12, v2, v[0:1]
	s_lshr_b64 s[0:1], s[8:9], 2
	v_cmp_gt_u64_e32 vcc, s[0:1], v[4:5]
	s_and_saveexec_b64 s[10:11], vcc
	s_cbranch_execz .LBB1_2
; %bb.1:
	v_lshlrev_b64 v[6:7], 4, v[4:5]
	v_mov_b32_e32 v1, s5
	v_add_co_u32_e32 v0, vcc, s4, v6
	v_addc_co_u32_e32 v1, vcc, v1, v7, vcc
	global_load_dwordx4 v[0:3], v[0:1], off
	s_mov_b32 s0, 0xbfb8aa3b
	s_mov_b32 s2, 0x42ce8ed0
	s_mov_b32 s3, 0xc2b17218
	v_mov_b32_e32 v8, 0x7f800000
	s_waitcnt vmcnt(0)
	v_mul_f32_e32 v9, 0xbfb8aa3b, v0
	v_mul_f32_e32 v10, 0xbfb8aa3b, v1
	v_fma_f32 v13, v0, s0, -v9
	v_rndne_f32_e32 v14, v9
	v_fma_f32 v15, v1, s0, -v10
	v_rndne_f32_e32 v16, v10
	v_fmac_f32_e32 v13, 0xb2a5705f, v0
	v_sub_f32_e32 v9, v9, v14
	v_add_f32_e32 v9, v9, v13
	v_fmac_f32_e32 v15, 0xb2a5705f, v1
	v_sub_f32_e32 v10, v10, v16
	v_cvt_i32_f32_e32 v14, v14
	v_add_f32_e32 v10, v10, v15
	v_exp_f32_e32 v9, v9
	v_cvt_i32_f32_e32 v16, v16
	v_exp_f32_e32 v10, v10
	v_cmp_nlt_f32_e32 vcc, s2, v0
	v_ldexp_f32 v9, v9, v14
	v_cndmask_b32_e32 v9, 0, v9, vcc
	v_ldexp_f32 v10, v10, v16
	v_cmp_nlt_f32_e32 vcc, s2, v1
	v_mul_f32_e32 v11, 0xbfb8aa3b, v2
	v_cndmask_b32_e32 v10, 0, v10, vcc
	v_cmp_ngt_f32_e32 vcc, s3, v0
	v_mul_f32_e32 v12, 0xbfb8aa3b, v3
	v_fma_f32 v17, v2, s0, -v11
	v_rndne_f32_e32 v18, v11
	v_cndmask_b32_e32 v9, v8, v9, vcc
	v_fma_f32 v19, v3, s0, -v12
	v_rndne_f32_e32 v13, v12
	v_fmac_f32_e32 v17, 0xb2a5705f, v2
	v_sub_f32_e32 v11, v11, v18
	v_cmp_ngt_f32_e32 vcc, s3, v1
	v_add_f32_e32 v9, 1.0, v9
	v_fmac_f32_e32 v19, 0xb2a5705f, v3
	v_sub_f32_e32 v12, v12, v13
	v_add_f32_e32 v11, v11, v17
	v_cndmask_b32_e32 v10, v8, v10, vcc
	v_div_scale_f32 v14, s[0:1], v9, v9, v0
	v_cvt_i32_f32_e32 v18, v18
	v_add_f32_e32 v12, v12, v19
	v_exp_f32_e32 v11, v11
	v_add_f32_e32 v10, 1.0, v10
	v_cvt_i32_f32_e32 v13, v13
	v_exp_f32_e32 v12, v12
	v_div_scale_f32 v15, s[0:1], v10, v10, v1
	v_ldexp_f32 v11, v11, v18
	v_cmp_nlt_f32_e32 vcc, s2, v2
	v_ldexp_f32 v12, v12, v13
	v_cndmask_b32_e32 v11, 0, v11, vcc
	v_div_scale_f32 v13, vcc, v0, v9, v0
	v_cmp_nlt_f32_e64 s[0:1], s2, v3
	v_cndmask_b32_e64 v12, 0, v12, s[0:1]
	v_cmp_ngt_f32_e64 s[0:1], s3, v2
	v_cndmask_b32_e64 v11, v8, v11, s[0:1]
	v_cmp_ngt_f32_e64 s[0:1], s3, v3
	v_cndmask_b32_e64 v8, v8, v12, s[0:1]
	v_div_scale_f32 v17, s[0:1], v1, v10, v1
	v_rcp_f32_e32 v12, v14
	v_rcp_f32_e32 v16, v15
	v_add_f32_e32 v11, 1.0, v11
	v_add_f32_e32 v8, 1.0, v8
	v_fma_f32 v18, -v14, v12, 1.0
	v_fmac_f32_e32 v12, v18, v12
	v_fma_f32 v19, -v15, v16, 1.0
	v_mul_f32_e32 v18, v13, v12
	v_fmac_f32_e32 v16, v19, v16
	v_fma_f32 v19, -v14, v18, v13
	v_fmac_f32_e32 v18, v19, v12
	v_div_scale_f32 v19, s[2:3], v11, v11, v2
	v_fma_f32 v13, -v14, v18, v13
	v_div_scale_f32 v14, s[2:3], v8, v8, v3
	v_div_fmas_f32 v12, v13, v12, v18
	v_mul_f32_e32 v13, v17, v16
	v_fma_f32 v18, -v15, v13, v17
	v_fmac_f32_e32 v13, v18, v16
	v_div_scale_f32 v18, s[2:3], v2, v11, v2
	v_fma_f32 v15, -v15, v13, v17
	s_mov_b64 vcc, s[0:1]
	v_div_fmas_f32 v13, v15, v16, v13
	s_mov_b64 vcc, s[2:3]
	v_rcp_f32_e32 v17, v19
	v_rcp_f32_e32 v15, v14
	v_fma_f32 v16, -v19, v17, 1.0
	v_fmac_f32_e32 v17, v16, v17
	v_div_fixup_f32 v0, v12, v9, v0
	v_fma_f32 v16, -v14, v15, 1.0
	v_fmac_f32_e32 v15, v16, v15
	v_mul_f32_e32 v16, v18, v17
	v_fma_f32 v20, -v19, v16, v18
	v_fmac_f32_e32 v16, v20, v17
	v_div_scale_f32 v20, s[0:1], v3, v8, v3
	v_fma_f32 v18, -v19, v16, v18
	v_div_fmas_f32 v16, v18, v17, v16
	s_mov_b64 vcc, s[0:1]
	v_div_fixup_f32 v1, v13, v10, v1
	v_mul_f32_e32 v21, v20, v15
	v_fma_f32 v22, -v14, v21, v20
	v_fmac_f32_e32 v21, v22, v15
	v_fma_f32 v14, -v14, v21, v20
	v_div_fmas_f32 v14, v14, v15, v21
	v_mov_b32_e32 v15, s7
	v_add_co_u32_e32 v6, vcc, s6, v6
	v_div_fixup_f32 v2, v16, v11, v2
	v_addc_co_u32_e32 v7, vcc, v15, v7, vcc
	v_div_fixup_f32 v3, v14, v8, v3
	global_store_dwordx4 v[6:7], v[0:3], off
.LBB1_2:
	s_or_b64 exec, exec, s[10:11]
	s_and_b32 s0, s8, -4
	v_mov_b32_e32 v1, s9
	v_add_co_u32_e32 v0, vcc, s0, v4
	v_addc_co_u32_e32 v1, vcc, v5, v1, vcc
	v_cmp_gt_u64_e32 vcc, s[8:9], v[0:1]
	s_and_saveexec_b64 s[0:1], vcc
	s_cbranch_execz .LBB1_5
; %bb.3:
	v_lshlrev_b64 v[2:3], 2, v[0:1]
	s_lshl_b32 s2, s12, 2
	s_mov_b64 s[0:1], 0
	v_mov_b32_e32 v4, s5
	s_mov_b32 s3, 0xbfb8aa3b
	s_mov_b32 s5, 0x42ce8ed0
	s_mov_b32 s10, 0xc2b17218
	v_mov_b32_e32 v5, 0x7f800000
	v_mov_b32_e32 v6, s7
.LBB1_4:                                ; =>This Inner Loop Header: Depth=1
	v_add_co_u32_e32 v7, vcc, s4, v2
	v_addc_co_u32_e32 v8, vcc, v4, v3, vcc
	global_load_dword v9, v[7:8], off
	s_waitcnt vmcnt(0)
	v_mul_f32_e32 v7, 0xbfb8aa3b, v9
	v_fma_f32 v8, v9, s3, -v7
	v_rndne_f32_e32 v10, v7
	v_fmac_f32_e32 v8, 0xb2a5705f, v9
	v_sub_f32_e32 v7, v7, v10
	v_add_f32_e32 v7, v7, v8
	v_cvt_i32_f32_e32 v10, v10
	v_exp_f32_e32 v7, v7
	v_cmp_nlt_f32_e32 vcc, s5, v9
	v_ldexp_f32 v7, v7, v10
	v_cndmask_b32_e32 v7, 0, v7, vcc
	v_cmp_ngt_f32_e32 vcc, s10, v9
	v_cndmask_b32_e32 v7, v5, v7, vcc
	v_add_f32_e32 v10, 1.0, v7
	v_div_scale_f32 v7, s[14:15], v10, v10, v9
	v_div_scale_f32 v8, vcc, v9, v10, v9
	v_rcp_f32_e32 v11, v7
	v_fma_f32 v12, -v7, v11, 1.0
	v_fmac_f32_e32 v11, v12, v11
	v_mul_f32_e32 v12, v8, v11
	v_fma_f32 v13, -v7, v12, v8
	v_fmac_f32_e32 v12, v13, v11
	v_fma_f32 v7, -v7, v12, v8
	v_div_fmas_f32 v11, v7, v11, v12
	v_add_co_u32_e32 v7, vcc, s6, v2
	v_addc_co_u32_e32 v8, vcc, v6, v3, vcc
	v_add_co_u32_e32 v0, vcc, s12, v0
	v_addc_co_u32_e32 v1, vcc, 0, v1, vcc
	;; [unrolled: 2-line block ×3, first 2 shown]
	v_cmp_le_u64_e32 vcc, s[8:9], v[0:1]
	s_or_b64 s[0:1], vcc, s[0:1]
	v_div_fixup_f32 v9, v11, v10, v9
	global_store_dword v[7:8], v9, off
	s_andn2_b64 exec, exec, s[0:1]
	s_cbranch_execnz .LBB1_4
.LBB1_5:
	s_endpgm
	.section	.rodata,"a",@progbits
	.p2align	6, 0x0
	.amdhsa_kernel _Z20silu_forward_kernel2PKfPfm
		.amdhsa_group_segment_fixed_size 0
		.amdhsa_private_segment_fixed_size 0
		.amdhsa_kernarg_size 280
		.amdhsa_user_sgpr_count 6
		.amdhsa_user_sgpr_private_segment_buffer 1
		.amdhsa_user_sgpr_dispatch_ptr 0
		.amdhsa_user_sgpr_queue_ptr 0
		.amdhsa_user_sgpr_kernarg_segment_ptr 1
		.amdhsa_user_sgpr_dispatch_id 0
		.amdhsa_user_sgpr_flat_scratch_init 0
		.amdhsa_user_sgpr_private_segment_size 0
		.amdhsa_uses_dynamic_stack 0
		.amdhsa_system_sgpr_private_segment_wavefront_offset 0
		.amdhsa_system_sgpr_workgroup_id_x 1
		.amdhsa_system_sgpr_workgroup_id_y 0
		.amdhsa_system_sgpr_workgroup_id_z 0
		.amdhsa_system_sgpr_workgroup_info 0
		.amdhsa_system_vgpr_workitem_id 0
		.amdhsa_next_free_vgpr 23
		.amdhsa_next_free_sgpr 16
		.amdhsa_reserve_vcc 1
		.amdhsa_reserve_flat_scratch 0
		.amdhsa_float_round_mode_32 0
		.amdhsa_float_round_mode_16_64 0
		.amdhsa_float_denorm_mode_32 3
		.amdhsa_float_denorm_mode_16_64 3
		.amdhsa_dx10_clamp 1
		.amdhsa_ieee_mode 1
		.amdhsa_fp16_overflow 0
		.amdhsa_exception_fp_ieee_invalid_op 0
		.amdhsa_exception_fp_denorm_src 0
		.amdhsa_exception_fp_ieee_div_zero 0
		.amdhsa_exception_fp_ieee_overflow 0
		.amdhsa_exception_fp_ieee_underflow 0
		.amdhsa_exception_fp_ieee_inexact 0
		.amdhsa_exception_int_div_zero 0
	.end_amdhsa_kernel
	.text
.Lfunc_end1:
	.size	_Z20silu_forward_kernel2PKfPfm, .Lfunc_end1-_Z20silu_forward_kernel2PKfPfm
                                        ; -- End function
	.set _Z20silu_forward_kernel2PKfPfm.num_vgpr, 23
	.set _Z20silu_forward_kernel2PKfPfm.num_agpr, 0
	.set _Z20silu_forward_kernel2PKfPfm.numbered_sgpr, 16
	.set _Z20silu_forward_kernel2PKfPfm.num_named_barrier, 0
	.set _Z20silu_forward_kernel2PKfPfm.private_seg_size, 0
	.set _Z20silu_forward_kernel2PKfPfm.uses_vcc, 1
	.set _Z20silu_forward_kernel2PKfPfm.uses_flat_scratch, 0
	.set _Z20silu_forward_kernel2PKfPfm.has_dyn_sized_stack, 0
	.set _Z20silu_forward_kernel2PKfPfm.has_recursion, 0
	.set _Z20silu_forward_kernel2PKfPfm.has_indirect_call, 0
	.section	.AMDGPU.csdata,"",@progbits
; Kernel info:
; codeLenInByte = 1068
; TotalNumSgprs: 20
; NumVgprs: 23
; ScratchSize: 0
; MemoryBound: 0
; FloatMode: 240
; IeeeMode: 1
; LDSByteSize: 0 bytes/workgroup (compile time only)
; SGPRBlocks: 2
; VGPRBlocks: 5
; NumSGPRsForWavesPerEU: 20
; NumVGPRsForWavesPerEU: 23
; Occupancy: 10
; WaveLimiterHint : 0
; COMPUTE_PGM_RSRC2:SCRATCH_EN: 0
; COMPUTE_PGM_RSRC2:USER_SGPR: 6
; COMPUTE_PGM_RSRC2:TRAP_HANDLER: 0
; COMPUTE_PGM_RSRC2:TGID_X_EN: 1
; COMPUTE_PGM_RSRC2:TGID_Y_EN: 0
; COMPUTE_PGM_RSRC2:TGID_Z_EN: 0
; COMPUTE_PGM_RSRC2:TIDIG_COMP_CNT: 0
	.text
	.protected	_Z20silu_backward_kernelPKfS0_Pfm ; -- Begin function _Z20silu_backward_kernelPKfS0_Pfm
	.globl	_Z20silu_backward_kernelPKfS0_Pfm
	.p2align	8
	.type	_Z20silu_backward_kernelPKfS0_Pfm,@function
_Z20silu_backward_kernelPKfS0_Pfm:      ; @_Z20silu_backward_kernelPKfS0_Pfm
; %bb.0:
	s_load_dword s0, s[4:5], 0x2c
	v_mov_b32_e32 v1, 0
	s_load_dwordx8 s[8:15], s[4:5], 0x0
	v_mov_b32_e32 v2, s6
	s_waitcnt lgkmcnt(0)
	s_and_b32 s0, s0, 0xffff
	v_mad_u64_u32 v[0:1], s[0:1], s0, v2, v[0:1]
	v_cmp_gt_u64_e32 vcc, s[14:15], v[0:1]
	s_and_saveexec_b64 s[0:1], vcc
	s_cbranch_execz .LBB2_2
; %bb.1:
	v_lshlrev_b64 v[0:1], 2, v[0:1]
	v_mov_b32_e32 v3, s11
	v_add_co_u32_e32 v2, vcc, s10, v0
	v_addc_co_u32_e32 v3, vcc, v3, v1, vcc
	global_load_dword v2, v[2:3], off
	s_mov_b32 s0, 0xbfb8aa3b
	s_mov_b32 s1, 0xc2b17218
	s_waitcnt vmcnt(0)
	v_mul_f32_e32 v3, 0xbfb8aa3b, v2
	v_fma_f32 v4, v2, s0, -v3
	v_rndne_f32_e32 v5, v3
	v_fmac_f32_e32 v4, 0xb2a5705f, v2
	v_sub_f32_e32 v3, v3, v5
	v_add_f32_e32 v3, v3, v4
	v_cvt_i32_f32_e32 v5, v5
	v_exp_f32_e32 v3, v3
	s_mov_b32 s0, 0x42ce8ed0
	v_cmp_nlt_f32_e32 vcc, s0, v2
	v_mov_b32_e32 v4, 0x7f800000
	v_ldexp_f32 v3, v3, v5
	v_cndmask_b32_e32 v3, 0, v3, vcc
	v_cmp_ngt_f32_e32 vcc, s1, v2
	v_cndmask_b32_e32 v3, v4, v3, vcc
	v_mul_f32_e32 v4, v2, v3
	v_add_f32_e32 v5, 1.0, v3
	v_div_scale_f32 v6, s[0:1], v5, v5, v4
	v_mov_b32_e32 v3, s9
	v_add_co_u32_e64 v2, s[0:1], s8, v0
	v_div_scale_f32 v7, vcc, v4, v5, v4
	v_addc_co_u32_e64 v3, s[0:1], v3, v1, s[0:1]
	global_load_dword v2, v[2:3], off
	v_rcp_f32_e32 v3, v6
	v_fma_f32 v8, -v6, v3, 1.0
	v_fmac_f32_e32 v3, v8, v3
	v_mul_f32_e32 v8, v7, v3
	v_fma_f32 v9, -v6, v8, v7
	v_fmac_f32_e32 v8, v9, v3
	v_fma_f32 v6, -v6, v8, v7
	v_div_fmas_f32 v3, v6, v3, v8
	v_div_fixup_f32 v3, v3, v5, v4
	v_add_f32_e32 v3, 1.0, v3
	v_div_scale_f32 v4, s[0:1], v5, v5, v3
	v_div_scale_f32 v6, vcc, v3, v5, v3
	v_rcp_f32_e32 v7, v4
	v_fma_f32 v8, -v4, v7, 1.0
	v_fmac_f32_e32 v7, v8, v7
	v_mul_f32_e32 v8, v6, v7
	v_fma_f32 v9, -v4, v8, v6
	v_fmac_f32_e32 v8, v9, v7
	v_fma_f32 v4, -v4, v8, v6
	v_div_fmas_f32 v4, v4, v7, v8
	v_mov_b32_e32 v6, s13
	v_add_co_u32_e32 v0, vcc, s12, v0
	v_addc_co_u32_e32 v1, vcc, v6, v1, vcc
	v_div_fixup_f32 v3, v4, v5, v3
	s_waitcnt vmcnt(0)
	v_mul_f32_e32 v2, v2, v3
	global_store_dword v[0:1], v2, off
.LBB2_2:
	s_endpgm
	.section	.rodata,"a",@progbits
	.p2align	6, 0x0
	.amdhsa_kernel _Z20silu_backward_kernelPKfS0_Pfm
		.amdhsa_group_segment_fixed_size 0
		.amdhsa_private_segment_fixed_size 0
		.amdhsa_kernarg_size 288
		.amdhsa_user_sgpr_count 6
		.amdhsa_user_sgpr_private_segment_buffer 1
		.amdhsa_user_sgpr_dispatch_ptr 0
		.amdhsa_user_sgpr_queue_ptr 0
		.amdhsa_user_sgpr_kernarg_segment_ptr 1
		.amdhsa_user_sgpr_dispatch_id 0
		.amdhsa_user_sgpr_flat_scratch_init 0
		.amdhsa_user_sgpr_private_segment_size 0
		.amdhsa_uses_dynamic_stack 0
		.amdhsa_system_sgpr_private_segment_wavefront_offset 0
		.amdhsa_system_sgpr_workgroup_id_x 1
		.amdhsa_system_sgpr_workgroup_id_y 0
		.amdhsa_system_sgpr_workgroup_id_z 0
		.amdhsa_system_sgpr_workgroup_info 0
		.amdhsa_system_vgpr_workitem_id 0
		.amdhsa_next_free_vgpr 10
		.amdhsa_next_free_sgpr 16
		.amdhsa_reserve_vcc 1
		.amdhsa_reserve_flat_scratch 0
		.amdhsa_float_round_mode_32 0
		.amdhsa_float_round_mode_16_64 0
		.amdhsa_float_denorm_mode_32 3
		.amdhsa_float_denorm_mode_16_64 3
		.amdhsa_dx10_clamp 1
		.amdhsa_ieee_mode 1
		.amdhsa_fp16_overflow 0
		.amdhsa_exception_fp_ieee_invalid_op 0
		.amdhsa_exception_fp_denorm_src 0
		.amdhsa_exception_fp_ieee_div_zero 0
		.amdhsa_exception_fp_ieee_overflow 0
		.amdhsa_exception_fp_ieee_underflow 0
		.amdhsa_exception_fp_ieee_inexact 0
		.amdhsa_exception_int_div_zero 0
	.end_amdhsa_kernel
	.text
.Lfunc_end2:
	.size	_Z20silu_backward_kernelPKfS0_Pfm, .Lfunc_end2-_Z20silu_backward_kernelPKfS0_Pfm
                                        ; -- End function
	.set _Z20silu_backward_kernelPKfS0_Pfm.num_vgpr, 10
	.set _Z20silu_backward_kernelPKfS0_Pfm.num_agpr, 0
	.set _Z20silu_backward_kernelPKfS0_Pfm.numbered_sgpr, 16
	.set _Z20silu_backward_kernelPKfS0_Pfm.num_named_barrier, 0
	.set _Z20silu_backward_kernelPKfS0_Pfm.private_seg_size, 0
	.set _Z20silu_backward_kernelPKfS0_Pfm.uses_vcc, 1
	.set _Z20silu_backward_kernelPKfS0_Pfm.uses_flat_scratch, 0
	.set _Z20silu_backward_kernelPKfS0_Pfm.has_dyn_sized_stack, 0
	.set _Z20silu_backward_kernelPKfS0_Pfm.has_recursion, 0
	.set _Z20silu_backward_kernelPKfS0_Pfm.has_indirect_call, 0
	.section	.AMDGPU.csdata,"",@progbits
; Kernel info:
; codeLenInByte = 404
; TotalNumSgprs: 20
; NumVgprs: 10
; ScratchSize: 0
; MemoryBound: 0
; FloatMode: 240
; IeeeMode: 1
; LDSByteSize: 0 bytes/workgroup (compile time only)
; SGPRBlocks: 2
; VGPRBlocks: 2
; NumSGPRsForWavesPerEU: 20
; NumVGPRsForWavesPerEU: 10
; Occupancy: 10
; WaveLimiterHint : 0
; COMPUTE_PGM_RSRC2:SCRATCH_EN: 0
; COMPUTE_PGM_RSRC2:USER_SGPR: 6
; COMPUTE_PGM_RSRC2:TRAP_HANDLER: 0
; COMPUTE_PGM_RSRC2:TGID_X_EN: 1
; COMPUTE_PGM_RSRC2:TGID_Y_EN: 0
; COMPUTE_PGM_RSRC2:TGID_Z_EN: 0
; COMPUTE_PGM_RSRC2:TIDIG_COMP_CNT: 0
	.text
	.protected	_Z21silu_backward_kernel2PKfS0_Pfm ; -- Begin function _Z21silu_backward_kernel2PKfS0_Pfm
	.globl	_Z21silu_backward_kernel2PKfS0_Pfm
	.p2align	8
	.type	_Z21silu_backward_kernel2PKfS0_Pfm,@function
_Z21silu_backward_kernel2PKfS0_Pfm:     ; @_Z21silu_backward_kernel2PKfS0_Pfm
; %bb.0:
	s_load_dword s0, s[4:5], 0x2c
	v_mov_b32_e32 v1, 0
	s_load_dwordx8 s[8:15], s[4:5], 0x0
	v_mov_b32_e32 v2, s6
	s_waitcnt lgkmcnt(0)
	s_and_b32 s0, s0, 0xffff
	v_mad_u64_u32 v[0:1], s[0:1], s0, v2, v[0:1]
	v_cmp_gt_u64_e32 vcc, s[14:15], v[0:1]
	s_and_saveexec_b64 s[0:1], vcc
	s_cbranch_execz .LBB3_2
; %bb.1:
	v_lshlrev_b64 v[0:1], 2, v[0:1]
	v_mov_b32_e32 v3, s11
	v_add_co_u32_e32 v2, vcc, s10, v0
	v_addc_co_u32_e32 v3, vcc, v3, v1, vcc
	global_load_dword v4, v[2:3], off
	v_mov_b32_e32 v3, s9
	v_add_co_u32_e32 v2, vcc, s8, v0
	v_addc_co_u32_e32 v3, vcc, v3, v1, vcc
	global_load_dword v2, v[2:3], off
	s_mov_b32 s0, 0xbfb8aa3b
	s_mov_b32 s1, 0xc2b17218
	s_waitcnt vmcnt(1)
	v_mul_f32_e32 v3, 0xbfb8aa3b, v4
	v_fma_f32 v5, v4, s0, -v3
	v_rndne_f32_e32 v6, v3
	v_fmac_f32_e32 v5, 0xb2a5705f, v4
	v_sub_f32_e32 v3, v3, v6
	v_add_f32_e32 v3, v3, v5
	v_cvt_i32_f32_e32 v6, v6
	v_exp_f32_e32 v3, v3
	s_mov_b32 s0, 0x42ce8ed0
	v_cmp_nlt_f32_e32 vcc, s0, v4
	v_mov_b32_e32 v5, 0x7f800000
	v_ldexp_f32 v3, v3, v6
	v_cndmask_b32_e32 v3, 0, v3, vcc
	v_cmp_ngt_f32_e32 vcc, s1, v4
	v_cndmask_b32_e32 v3, v5, v3, vcc
	v_add_f32_e32 v3, 1.0, v3
	v_div_scale_f32 v5, s[0:1], v3, v3, 1.0
	v_div_scale_f32 v6, vcc, 1.0, v3, 1.0
	v_rcp_f32_e32 v7, v5
	v_fma_f32 v8, -v5, v7, 1.0
	v_fmac_f32_e32 v7, v8, v7
	v_mul_f32_e32 v8, v6, v7
	v_fma_f32 v9, -v5, v8, v6
	v_fmac_f32_e32 v8, v9, v7
	v_fma_f32 v5, -v5, v8, v6
	v_div_fmas_f32 v5, v5, v7, v8
	v_mov_b32_e32 v6, s13
	v_add_co_u32_e32 v0, vcc, s12, v0
	v_addc_co_u32_e32 v1, vcc, v6, v1, vcc
	v_div_fixup_f32 v3, v5, v3, 1.0
	v_sub_f32_e32 v5, 1.0, v3
	v_fma_f32 v4, v4, v5, 1.0
	v_mul_f32_e32 v3, v3, v4
	s_waitcnt vmcnt(0)
	v_mul_f32_e32 v2, v2, v3
	global_store_dword v[0:1], v2, off
.LBB3_2:
	s_endpgm
	.section	.rodata,"a",@progbits
	.p2align	6, 0x0
	.amdhsa_kernel _Z21silu_backward_kernel2PKfS0_Pfm
		.amdhsa_group_segment_fixed_size 0
		.amdhsa_private_segment_fixed_size 0
		.amdhsa_kernarg_size 288
		.amdhsa_user_sgpr_count 6
		.amdhsa_user_sgpr_private_segment_buffer 1
		.amdhsa_user_sgpr_dispatch_ptr 0
		.amdhsa_user_sgpr_queue_ptr 0
		.amdhsa_user_sgpr_kernarg_segment_ptr 1
		.amdhsa_user_sgpr_dispatch_id 0
		.amdhsa_user_sgpr_flat_scratch_init 0
		.amdhsa_user_sgpr_private_segment_size 0
		.amdhsa_uses_dynamic_stack 0
		.amdhsa_system_sgpr_private_segment_wavefront_offset 0
		.amdhsa_system_sgpr_workgroup_id_x 1
		.amdhsa_system_sgpr_workgroup_id_y 0
		.amdhsa_system_sgpr_workgroup_id_z 0
		.amdhsa_system_sgpr_workgroup_info 0
		.amdhsa_system_vgpr_workitem_id 0
		.amdhsa_next_free_vgpr 10
		.amdhsa_next_free_sgpr 16
		.amdhsa_reserve_vcc 1
		.amdhsa_reserve_flat_scratch 0
		.amdhsa_float_round_mode_32 0
		.amdhsa_float_round_mode_16_64 0
		.amdhsa_float_denorm_mode_32 3
		.amdhsa_float_denorm_mode_16_64 3
		.amdhsa_dx10_clamp 1
		.amdhsa_ieee_mode 1
		.amdhsa_fp16_overflow 0
		.amdhsa_exception_fp_ieee_invalid_op 0
		.amdhsa_exception_fp_denorm_src 0
		.amdhsa_exception_fp_ieee_div_zero 0
		.amdhsa_exception_fp_ieee_overflow 0
		.amdhsa_exception_fp_ieee_underflow 0
		.amdhsa_exception_fp_ieee_inexact 0
		.amdhsa_exception_int_div_zero 0
	.end_amdhsa_kernel
	.text
.Lfunc_end3:
	.size	_Z21silu_backward_kernel2PKfS0_Pfm, .Lfunc_end3-_Z21silu_backward_kernel2PKfS0_Pfm
                                        ; -- End function
	.set _Z21silu_backward_kernel2PKfS0_Pfm.num_vgpr, 10
	.set _Z21silu_backward_kernel2PKfS0_Pfm.num_agpr, 0
	.set _Z21silu_backward_kernel2PKfS0_Pfm.numbered_sgpr, 16
	.set _Z21silu_backward_kernel2PKfS0_Pfm.num_named_barrier, 0
	.set _Z21silu_backward_kernel2PKfS0_Pfm.private_seg_size, 0
	.set _Z21silu_backward_kernel2PKfS0_Pfm.uses_vcc, 1
	.set _Z21silu_backward_kernel2PKfS0_Pfm.uses_flat_scratch, 0
	.set _Z21silu_backward_kernel2PKfS0_Pfm.has_dyn_sized_stack, 0
	.set _Z21silu_backward_kernel2PKfS0_Pfm.has_recursion, 0
	.set _Z21silu_backward_kernel2PKfS0_Pfm.has_indirect_call, 0
	.section	.AMDGPU.csdata,"",@progbits
; Kernel info:
; codeLenInByte = 332
; TotalNumSgprs: 20
; NumVgprs: 10
; ScratchSize: 0
; MemoryBound: 0
; FloatMode: 240
; IeeeMode: 1
; LDSByteSize: 0 bytes/workgroup (compile time only)
; SGPRBlocks: 2
; VGPRBlocks: 2
; NumSGPRsForWavesPerEU: 20
; NumVGPRsForWavesPerEU: 10
; Occupancy: 10
; WaveLimiterHint : 0
; COMPUTE_PGM_RSRC2:SCRATCH_EN: 0
; COMPUTE_PGM_RSRC2:USER_SGPR: 6
; COMPUTE_PGM_RSRC2:TRAP_HANDLER: 0
; COMPUTE_PGM_RSRC2:TGID_X_EN: 1
; COMPUTE_PGM_RSRC2:TGID_Y_EN: 0
; COMPUTE_PGM_RSRC2:TGID_Z_EN: 0
; COMPUTE_PGM_RSRC2:TIDIG_COMP_CNT: 0
	.text
	.protected	_Z21silu_backward_kernel3PKfS0_Pfm ; -- Begin function _Z21silu_backward_kernel3PKfS0_Pfm
	.globl	_Z21silu_backward_kernel3PKfS0_Pfm
	.p2align	8
	.type	_Z21silu_backward_kernel3PKfS0_Pfm,@function
_Z21silu_backward_kernel3PKfS0_Pfm:     ; @_Z21silu_backward_kernel3PKfS0_Pfm
; %bb.0:
	s_load_dword s0, s[4:5], 0x2c
	s_load_dwordx8 s[8:15], s[4:5], 0x0
	v_mov_b32_e32 v1, 0
	v_mov_b32_e32 v2, s6
	s_waitcnt lgkmcnt(0)
	s_and_b32 s7, s0, 0xffff
	v_mad_u64_u32 v[4:5], s[0:1], s7, v2, v[0:1]
	s_lshr_b64 s[0:1], s[14:15], 2
	v_cmp_gt_u64_e32 vcc, s[0:1], v[4:5]
	s_and_saveexec_b64 s[4:5], vcc
	s_cbranch_execz .LBB4_2
; %bb.1:
	v_lshlrev_b64 v[6:7], 4, v[4:5]
	v_mov_b32_e32 v1, s11
	v_add_co_u32_e32 v0, vcc, s10, v6
	v_addc_co_u32_e32 v1, vcc, v1, v7, vcc
	global_load_dwordx4 v[0:3], v[0:1], off
	s_mov_b32 s0, 0xbfb8aa3b
	s_mov_b32 s2, 0x42ce8ed0
	;; [unrolled: 1-line block ×3, first 2 shown]
	v_mov_b32_e32 v8, 0x7f800000
	s_waitcnt vmcnt(0)
	v_mul_f32_e32 v9, 0xbfb8aa3b, v0
	v_mul_f32_e32 v10, 0xbfb8aa3b, v1
	v_fma_f32 v13, v0, s0, -v9
	v_rndne_f32_e32 v14, v9
	v_mul_f32_e32 v11, 0xbfb8aa3b, v2
	v_fma_f32 v15, v1, s0, -v10
	v_rndne_f32_e32 v16, v10
	v_fmac_f32_e32 v13, 0xb2a5705f, v0
	v_sub_f32_e32 v9, v9, v14
	v_fma_f32 v17, v2, s0, -v11
	v_rndne_f32_e32 v18, v11
	v_fmac_f32_e32 v15, 0xb2a5705f, v1
	v_sub_f32_e32 v10, v10, v16
	v_add_f32_e32 v9, v9, v13
	v_cvt_i32_f32_e32 v14, v14
	v_fmac_f32_e32 v17, 0xb2a5705f, v2
	v_sub_f32_e32 v11, v11, v18
	v_add_f32_e32 v10, v10, v15
	v_exp_f32_e32 v9, v9
	v_cvt_i32_f32_e32 v16, v16
	v_add_f32_e32 v11, v11, v17
	v_exp_f32_e32 v10, v10
	v_cvt_i32_f32_e32 v18, v18
	v_exp_f32_e32 v11, v11
	v_ldexp_f32 v9, v9, v14
	v_cmp_nlt_f32_e32 vcc, s2, v0
	v_ldexp_f32 v10, v10, v16
	v_cndmask_b32_e32 v9, 0, v9, vcc
	v_cmp_nlt_f32_e32 vcc, s2, v1
	v_ldexp_f32 v11, v11, v18
	v_cndmask_b32_e32 v10, 0, v10, vcc
	v_cmp_nlt_f32_e32 vcc, s2, v2
	v_cndmask_b32_e32 v11, 0, v11, vcc
	v_cmp_ngt_f32_e32 vcc, s3, v0
	v_cndmask_b32_e32 v9, v8, v9, vcc
	v_cmp_ngt_f32_e32 vcc, s3, v1
	v_mul_f32_e32 v12, 0xbfb8aa3b, v3
	v_cndmask_b32_e32 v10, v8, v10, vcc
	v_cmp_ngt_f32_e32 vcc, s3, v2
	v_add_f32_e32 v14, 1.0, v9
	v_fma_f32 v19, v3, s0, -v12
	v_cndmask_b32_e32 v11, v8, v11, vcc
	v_add_f32_e32 v15, 1.0, v10
	v_div_scale_f32 v9, s[0:1], v14, v14, 1.0
	v_add_f32_e32 v16, 1.0, v11
	v_div_scale_f32 v10, s[0:1], v15, v15, 1.0
	v_div_scale_f32 v11, s[0:1], v16, v16, 1.0
	v_div_scale_f32 v17, vcc, 1.0, v14, 1.0
	v_rndne_f32_e32 v13, v12
	v_fmac_f32_e32 v19, 0xb2a5705f, v3
	v_sub_f32_e32 v12, v12, v13
	v_add_f32_e32 v12, v12, v19
	v_cvt_i32_f32_e32 v13, v13
	v_exp_f32_e32 v12, v12
	v_cmp_nlt_f32_e64 s[0:1], s2, v3
	v_ldexp_f32 v12, v12, v13
	v_cndmask_b32_e64 v12, 0, v12, s[0:1]
	v_rcp_f32_e32 v13, v9
	v_cmp_ngt_f32_e64 s[0:1], s3, v3
	v_cndmask_b32_e64 v8, v8, v12, s[0:1]
	v_rcp_f32_e32 v12, v10
	v_rcp_f32_e32 v18, v11
	v_fma_f32 v19, -v9, v13, 1.0
	v_fmac_f32_e32 v13, v19, v13
	v_fma_f32 v19, -v10, v12, 1.0
	v_fmac_f32_e32 v12, v19, v12
	;; [unrolled: 2-line block ×3, first 2 shown]
	v_mul_f32_e32 v19, v17, v13
	v_fma_f32 v20, -v9, v19, v17
	v_fmac_f32_e32 v19, v20, v13
	v_fma_f32 v9, -v9, v19, v17
	v_div_scale_f32 v17, s[0:1], 1.0, v15, 1.0
	v_div_fmas_f32 v13, v9, v13, v19
	v_add_f32_e32 v20, 1.0, v8
	s_mov_b64 vcc, s[0:1]
	v_mul_f32_e32 v9, v17, v12
	v_fma_f32 v19, -v10, v9, v17
	v_fmac_f32_e32 v9, v19, v12
	v_div_scale_f32 v19, s[2:3], 1.0, v16, 1.0
	v_fma_f32 v8, -v10, v9, v17
	v_div_scale_f32 v10, s[16:17], v20, v20, 1.0
	v_div_fmas_f32 v12, v8, v12, v9
	s_mov_b64 vcc, s[2:3]
	v_div_fixup_f32 v13, v13, v14, 1.0
	v_sub_f32_e32 v14, 1.0, v13
	v_fma_f32 v0, v0, v14, 1.0
	v_mul_f32_e32 v0, v13, v0
	v_mul_f32_e32 v8, v19, v18
	v_fma_f32 v9, -v11, v8, v19
	v_fmac_f32_e32 v8, v9, v18
	v_rcp_f32_e32 v17, v10
	v_fma_f32 v11, -v11, v8, v19
	v_mov_b32_e32 v9, s9
	v_div_fmas_f32 v18, v11, v18, v8
	v_add_co_u32_e32 v8, vcc, s8, v6
	v_addc_co_u32_e32 v9, vcc, v9, v7, vcc
	v_fma_f32 v11, -v10, v17, 1.0
	v_fmac_f32_e32 v17, v11, v17
	v_div_scale_f32 v11, vcc, 1.0, v20, 1.0
	v_div_fixup_f32 v12, v12, v15, 1.0
	v_sub_f32_e32 v14, 1.0, v12
	v_fma_f32 v1, v1, v14, 1.0
	v_mul_f32_e32 v1, v12, v1
	v_div_fixup_f32 v15, v18, v16, 1.0
	v_sub_f32_e32 v13, 1.0, v15
	v_fma_f32 v2, v2, v13, 1.0
	v_mul_f32_e32 v2, v15, v2
	v_mul_f32_e32 v19, v11, v17
	v_fma_f32 v21, -v10, v19, v11
	v_fmac_f32_e32 v19, v21, v17
	v_fma_f32 v10, -v10, v19, v11
	v_div_fmas_f32 v17, v10, v17, v19
	global_load_dwordx4 v[8:11], v[8:9], off
	v_add_co_u32_e32 v6, vcc, s12, v6
	v_div_fixup_f32 v16, v17, v20, 1.0
	v_sub_f32_e32 v12, 1.0, v16
	v_fma_f32 v3, v3, v12, 1.0
	v_mul_f32_e32 v3, v16, v3
	s_waitcnt vmcnt(0)
	v_mul_f32_e32 v0, v8, v0
	v_mov_b32_e32 v8, s13
	v_mul_f32_e32 v1, v9, v1
	v_mul_f32_e32 v2, v10, v2
	;; [unrolled: 1-line block ×3, first 2 shown]
	v_addc_co_u32_e32 v7, vcc, v8, v7, vcc
	global_store_dwordx4 v[6:7], v[0:3], off
.LBB4_2:
	s_or_b64 exec, exec, s[4:5]
	s_and_b32 s0, s14, -4
	v_mov_b32_e32 v1, s15
	v_add_co_u32_e32 v0, vcc, s0, v4
	v_addc_co_u32_e32 v1, vcc, v5, v1, vcc
	v_cmp_gt_u64_e32 vcc, s[14:15], v[0:1]
	s_and_saveexec_b64 s[0:1], vcc
	s_cbranch_execz .LBB4_5
; %bb.3:
	v_lshlrev_b64 v[2:3], 2, v[0:1]
	s_lshl_b32 s2, s7, 2
	s_mov_b64 s[0:1], 0
	v_mov_b32_e32 v4, s11
	s_mov_b32 s3, 0xbfb8aa3b
	s_mov_b32 s4, 0x42ce8ed0
	;; [unrolled: 1-line block ×3, first 2 shown]
	v_mov_b32_e32 v5, 0x7f800000
	v_mov_b32_e32 v6, s9
	;; [unrolled: 1-line block ×3, first 2 shown]
.LBB4_4:                                ; =>This Inner Loop Header: Depth=1
	v_add_co_u32_e32 v8, vcc, s10, v2
	v_addc_co_u32_e32 v9, vcc, v4, v3, vcc
	global_load_dword v10, v[8:9], off
	v_add_co_u32_e32 v8, vcc, s8, v2
	v_addc_co_u32_e32 v9, vcc, v6, v3, vcc
	global_load_dword v11, v[8:9], off
	s_waitcnt vmcnt(1)
	v_mul_f32_e32 v8, 0xbfb8aa3b, v10
	v_fma_f32 v9, v10, s3, -v8
	v_rndne_f32_e32 v12, v8
	v_fmac_f32_e32 v9, 0xb2a5705f, v10
	v_sub_f32_e32 v8, v8, v12
	v_add_f32_e32 v8, v8, v9
	v_cvt_i32_f32_e32 v12, v12
	v_exp_f32_e32 v8, v8
	v_cmp_nlt_f32_e32 vcc, s4, v10
	v_ldexp_f32 v8, v8, v12
	v_cndmask_b32_e32 v8, 0, v8, vcc
	v_cmp_ngt_f32_e32 vcc, s5, v10
	v_cndmask_b32_e32 v8, v5, v8, vcc
	v_add_f32_e32 v12, 1.0, v8
	v_div_scale_f32 v8, s[16:17], v12, v12, 1.0
	v_div_scale_f32 v9, vcc, 1.0, v12, 1.0
	v_rcp_f32_e32 v13, v8
	v_fma_f32 v14, -v8, v13, 1.0
	v_fmac_f32_e32 v13, v14, v13
	v_mul_f32_e32 v14, v9, v13
	v_fma_f32 v15, -v8, v14, v9
	v_fmac_f32_e32 v14, v15, v13
	v_fma_f32 v8, -v8, v14, v9
	v_div_fmas_f32 v13, v8, v13, v14
	v_add_co_u32_e32 v8, vcc, s12, v2
	v_addc_co_u32_e32 v9, vcc, v7, v3, vcc
	v_add_co_u32_e32 v0, vcc, s7, v0
	v_addc_co_u32_e32 v1, vcc, 0, v1, vcc
	v_add_co_u32_e32 v2, vcc, s2, v2
	v_addc_co_u32_e32 v3, vcc, 0, v3, vcc
	v_cmp_le_u64_e32 vcc, s[14:15], v[0:1]
	s_or_b64 s[0:1], vcc, s[0:1]
	v_div_fixup_f32 v12, v13, v12, 1.0
	v_sub_f32_e32 v13, 1.0, v12
	v_fma_f32 v10, v10, v13, 1.0
	v_mul_f32_e32 v10, v12, v10
	s_waitcnt vmcnt(0)
	v_mul_f32_e32 v10, v11, v10
	global_store_dword v[8:9], v10, off
	s_andn2_b64 exec, exec, s[0:1]
	s_cbranch_execnz .LBB4_4
.LBB4_5:
	s_endpgm
	.section	.rodata,"a",@progbits
	.p2align	6, 0x0
	.amdhsa_kernel _Z21silu_backward_kernel3PKfS0_Pfm
		.amdhsa_group_segment_fixed_size 0
		.amdhsa_private_segment_fixed_size 0
		.amdhsa_kernarg_size 288
		.amdhsa_user_sgpr_count 6
		.amdhsa_user_sgpr_private_segment_buffer 1
		.amdhsa_user_sgpr_dispatch_ptr 0
		.amdhsa_user_sgpr_queue_ptr 0
		.amdhsa_user_sgpr_kernarg_segment_ptr 1
		.amdhsa_user_sgpr_dispatch_id 0
		.amdhsa_user_sgpr_flat_scratch_init 0
		.amdhsa_user_sgpr_private_segment_size 0
		.amdhsa_uses_dynamic_stack 0
		.amdhsa_system_sgpr_private_segment_wavefront_offset 0
		.amdhsa_system_sgpr_workgroup_id_x 1
		.amdhsa_system_sgpr_workgroup_id_y 0
		.amdhsa_system_sgpr_workgroup_id_z 0
		.amdhsa_system_sgpr_workgroup_info 0
		.amdhsa_system_vgpr_workitem_id 0
		.amdhsa_next_free_vgpr 22
		.amdhsa_next_free_sgpr 18
		.amdhsa_reserve_vcc 1
		.amdhsa_reserve_flat_scratch 0
		.amdhsa_float_round_mode_32 0
		.amdhsa_float_round_mode_16_64 0
		.amdhsa_float_denorm_mode_32 3
		.amdhsa_float_denorm_mode_16_64 3
		.amdhsa_dx10_clamp 1
		.amdhsa_ieee_mode 1
		.amdhsa_fp16_overflow 0
		.amdhsa_exception_fp_ieee_invalid_op 0
		.amdhsa_exception_fp_denorm_src 0
		.amdhsa_exception_fp_ieee_div_zero 0
		.amdhsa_exception_fp_ieee_overflow 0
		.amdhsa_exception_fp_ieee_underflow 0
		.amdhsa_exception_fp_ieee_inexact 0
		.amdhsa_exception_int_div_zero 0
	.end_amdhsa_kernel
	.text
.Lfunc_end4:
	.size	_Z21silu_backward_kernel3PKfS0_Pfm, .Lfunc_end4-_Z21silu_backward_kernel3PKfS0_Pfm
                                        ; -- End function
	.set _Z21silu_backward_kernel3PKfS0_Pfm.num_vgpr, 22
	.set _Z21silu_backward_kernel3PKfS0_Pfm.num_agpr, 0
	.set _Z21silu_backward_kernel3PKfS0_Pfm.numbered_sgpr, 18
	.set _Z21silu_backward_kernel3PKfS0_Pfm.num_named_barrier, 0
	.set _Z21silu_backward_kernel3PKfS0_Pfm.private_seg_size, 0
	.set _Z21silu_backward_kernel3PKfS0_Pfm.uses_vcc, 1
	.set _Z21silu_backward_kernel3PKfS0_Pfm.uses_flat_scratch, 0
	.set _Z21silu_backward_kernel3PKfS0_Pfm.has_dyn_sized_stack, 0
	.set _Z21silu_backward_kernel3PKfS0_Pfm.has_recursion, 0
	.set _Z21silu_backward_kernel3PKfS0_Pfm.has_indirect_call, 0
	.section	.AMDGPU.csdata,"",@progbits
; Kernel info:
; codeLenInByte = 1196
; TotalNumSgprs: 22
; NumVgprs: 22
; ScratchSize: 0
; MemoryBound: 0
; FloatMode: 240
; IeeeMode: 1
; LDSByteSize: 0 bytes/workgroup (compile time only)
; SGPRBlocks: 2
; VGPRBlocks: 5
; NumSGPRsForWavesPerEU: 22
; NumVGPRsForWavesPerEU: 22
; Occupancy: 10
; WaveLimiterHint : 0
; COMPUTE_PGM_RSRC2:SCRATCH_EN: 0
; COMPUTE_PGM_RSRC2:USER_SGPR: 6
; COMPUTE_PGM_RSRC2:TRAP_HANDLER: 0
; COMPUTE_PGM_RSRC2:TGID_X_EN: 1
; COMPUTE_PGM_RSRC2:TGID_Y_EN: 0
; COMPUTE_PGM_RSRC2:TGID_Z_EN: 0
; COMPUTE_PGM_RSRC2:TIDIG_COMP_CNT: 0
	.section	.AMDGPU.gpr_maximums,"",@progbits
	.set amdgpu.max_num_vgpr, 0
	.set amdgpu.max_num_agpr, 0
	.set amdgpu.max_num_sgpr, 0
	.section	.AMDGPU.csdata,"",@progbits
	.type	__hip_cuid_ca41ac2f77a9ef3c,@object ; @__hip_cuid_ca41ac2f77a9ef3c
	.section	.bss,"aw",@nobits
	.globl	__hip_cuid_ca41ac2f77a9ef3c
__hip_cuid_ca41ac2f77a9ef3c:
	.byte	0                               ; 0x0
	.size	__hip_cuid_ca41ac2f77a9ef3c, 1

	.ident	"AMD clang version 22.0.0git (https://github.com/RadeonOpenCompute/llvm-project roc-7.2.4 26084 f58b06dce1f9c15707c5f808fd002e18c2accf7e)"
	.section	".note.GNU-stack","",@progbits
	.addrsig
	.addrsig_sym __hip_cuid_ca41ac2f77a9ef3c
	.amdgpu_metadata
---
amdhsa.kernels:
  - .args:
      - .address_space:  global
        .offset:         0
        .size:           8
        .value_kind:     global_buffer
      - .address_space:  global
        .offset:         8
        .size:           8
        .value_kind:     global_buffer
      - .offset:         16
        .size:           8
        .value_kind:     by_value
      - .offset:         24
        .size:           4
        .value_kind:     hidden_block_count_x
      - .offset:         28
        .size:           4
        .value_kind:     hidden_block_count_y
      - .offset:         32
        .size:           4
        .value_kind:     hidden_block_count_z
      - .offset:         36
        .size:           2
        .value_kind:     hidden_group_size_x
      - .offset:         38
        .size:           2
        .value_kind:     hidden_group_size_y
      - .offset:         40
        .size:           2
        .value_kind:     hidden_group_size_z
      - .offset:         42
        .size:           2
        .value_kind:     hidden_remainder_x
      - .offset:         44
        .size:           2
        .value_kind:     hidden_remainder_y
      - .offset:         46
        .size:           2
        .value_kind:     hidden_remainder_z
      - .offset:         64
        .size:           8
        .value_kind:     hidden_global_offset_x
      - .offset:         72
        .size:           8
        .value_kind:     hidden_global_offset_y
      - .offset:         80
        .size:           8
        .value_kind:     hidden_global_offset_z
      - .offset:         88
        .size:           2
        .value_kind:     hidden_grid_dims
    .group_segment_fixed_size: 0
    .kernarg_segment_align: 8
    .kernarg_segment_size: 280
    .language:       OpenCL C
    .language_version:
      - 2
      - 0
    .max_flat_workgroup_size: 1024
    .name:           _Z19silu_forward_kernelPKfPfm
    .private_segment_fixed_size: 0
    .sgpr_count:     11
    .sgpr_spill_count: 0
    .symbol:         _Z19silu_forward_kernelPKfPfm.kd
    .uniform_work_group_size: 1
    .uses_dynamic_stack: false
    .vgpr_count:     9
    .vgpr_spill_count: 0
    .wavefront_size: 64
  - .args:
      - .address_space:  global
        .offset:         0
        .size:           8
        .value_kind:     global_buffer
      - .address_space:  global
        .offset:         8
        .size:           8
        .value_kind:     global_buffer
      - .offset:         16
        .size:           8
        .value_kind:     by_value
      - .offset:         24
        .size:           4
        .value_kind:     hidden_block_count_x
      - .offset:         28
        .size:           4
        .value_kind:     hidden_block_count_y
      - .offset:         32
        .size:           4
        .value_kind:     hidden_block_count_z
      - .offset:         36
        .size:           2
        .value_kind:     hidden_group_size_x
      - .offset:         38
        .size:           2
        .value_kind:     hidden_group_size_y
      - .offset:         40
        .size:           2
        .value_kind:     hidden_group_size_z
      - .offset:         42
        .size:           2
        .value_kind:     hidden_remainder_x
      - .offset:         44
        .size:           2
        .value_kind:     hidden_remainder_y
      - .offset:         46
        .size:           2
        .value_kind:     hidden_remainder_z
      - .offset:         64
        .size:           8
        .value_kind:     hidden_global_offset_x
      - .offset:         72
        .size:           8
        .value_kind:     hidden_global_offset_y
      - .offset:         80
        .size:           8
        .value_kind:     hidden_global_offset_z
      - .offset:         88
        .size:           2
        .value_kind:     hidden_grid_dims
    .group_segment_fixed_size: 0
    .kernarg_segment_align: 8
    .kernarg_segment_size: 280
    .language:       OpenCL C
    .language_version:
      - 2
      - 0
    .max_flat_workgroup_size: 1024
    .name:           _Z20silu_forward_kernel2PKfPfm
    .private_segment_fixed_size: 0
    .sgpr_count:     20
    .sgpr_spill_count: 0
    .symbol:         _Z20silu_forward_kernel2PKfPfm.kd
    .uniform_work_group_size: 1
    .uses_dynamic_stack: false
    .vgpr_count:     23
    .vgpr_spill_count: 0
    .wavefront_size: 64
  - .args:
      - .address_space:  global
        .offset:         0
        .size:           8
        .value_kind:     global_buffer
      - .address_space:  global
        .offset:         8
        .size:           8
        .value_kind:     global_buffer
      - .address_space:  global
        .offset:         16
        .size:           8
        .value_kind:     global_buffer
      - .offset:         24
        .size:           8
        .value_kind:     by_value
      - .offset:         32
        .size:           4
        .value_kind:     hidden_block_count_x
      - .offset:         36
        .size:           4
        .value_kind:     hidden_block_count_y
      - .offset:         40
        .size:           4
        .value_kind:     hidden_block_count_z
      - .offset:         44
        .size:           2
        .value_kind:     hidden_group_size_x
      - .offset:         46
        .size:           2
        .value_kind:     hidden_group_size_y
      - .offset:         48
        .size:           2
        .value_kind:     hidden_group_size_z
      - .offset:         50
        .size:           2
        .value_kind:     hidden_remainder_x
      - .offset:         52
        .size:           2
        .value_kind:     hidden_remainder_y
      - .offset:         54
        .size:           2
        .value_kind:     hidden_remainder_z
      - .offset:         72
        .size:           8
        .value_kind:     hidden_global_offset_x
      - .offset:         80
        .size:           8
        .value_kind:     hidden_global_offset_y
      - .offset:         88
        .size:           8
        .value_kind:     hidden_global_offset_z
      - .offset:         96
        .size:           2
        .value_kind:     hidden_grid_dims
    .group_segment_fixed_size: 0
    .kernarg_segment_align: 8
    .kernarg_segment_size: 288
    .language:       OpenCL C
    .language_version:
      - 2
      - 0
    .max_flat_workgroup_size: 1024
    .name:           _Z20silu_backward_kernelPKfS0_Pfm
    .private_segment_fixed_size: 0
    .sgpr_count:     20
    .sgpr_spill_count: 0
    .symbol:         _Z20silu_backward_kernelPKfS0_Pfm.kd
    .uniform_work_group_size: 1
    .uses_dynamic_stack: false
    .vgpr_count:     10
    .vgpr_spill_count: 0
    .wavefront_size: 64
  - .args:
      - .address_space:  global
        .offset:         0
        .size:           8
        .value_kind:     global_buffer
      - .address_space:  global
        .offset:         8
        .size:           8
        .value_kind:     global_buffer
      - .address_space:  global
        .offset:         16
        .size:           8
        .value_kind:     global_buffer
      - .offset:         24
        .size:           8
        .value_kind:     by_value
      - .offset:         32
        .size:           4
        .value_kind:     hidden_block_count_x
      - .offset:         36
        .size:           4
        .value_kind:     hidden_block_count_y
      - .offset:         40
        .size:           4
        .value_kind:     hidden_block_count_z
      - .offset:         44
        .size:           2
        .value_kind:     hidden_group_size_x
      - .offset:         46
        .size:           2
        .value_kind:     hidden_group_size_y
      - .offset:         48
        .size:           2
        .value_kind:     hidden_group_size_z
      - .offset:         50
        .size:           2
        .value_kind:     hidden_remainder_x
      - .offset:         52
        .size:           2
        .value_kind:     hidden_remainder_y
      - .offset:         54
        .size:           2
        .value_kind:     hidden_remainder_z
      - .offset:         72
        .size:           8
        .value_kind:     hidden_global_offset_x
      - .offset:         80
        .size:           8
        .value_kind:     hidden_global_offset_y
      - .offset:         88
        .size:           8
        .value_kind:     hidden_global_offset_z
      - .offset:         96
        .size:           2
        .value_kind:     hidden_grid_dims
    .group_segment_fixed_size: 0
    .kernarg_segment_align: 8
    .kernarg_segment_size: 288
    .language:       OpenCL C
    .language_version:
      - 2
      - 0
    .max_flat_workgroup_size: 1024
    .name:           _Z21silu_backward_kernel2PKfS0_Pfm
    .private_segment_fixed_size: 0
    .sgpr_count:     20
    .sgpr_spill_count: 0
    .symbol:         _Z21silu_backward_kernel2PKfS0_Pfm.kd
    .uniform_work_group_size: 1
    .uses_dynamic_stack: false
    .vgpr_count:     10
    .vgpr_spill_count: 0
    .wavefront_size: 64
  - .args:
      - .address_space:  global
        .offset:         0
        .size:           8
        .value_kind:     global_buffer
      - .address_space:  global
        .offset:         8
        .size:           8
        .value_kind:     global_buffer
      - .address_space:  global
        .offset:         16
        .size:           8
        .value_kind:     global_buffer
      - .offset:         24
        .size:           8
        .value_kind:     by_value
      - .offset:         32
        .size:           4
        .value_kind:     hidden_block_count_x
      - .offset:         36
        .size:           4
        .value_kind:     hidden_block_count_y
      - .offset:         40
        .size:           4
        .value_kind:     hidden_block_count_z
      - .offset:         44
        .size:           2
        .value_kind:     hidden_group_size_x
      - .offset:         46
        .size:           2
        .value_kind:     hidden_group_size_y
      - .offset:         48
        .size:           2
        .value_kind:     hidden_group_size_z
      - .offset:         50
        .size:           2
        .value_kind:     hidden_remainder_x
      - .offset:         52
        .size:           2
        .value_kind:     hidden_remainder_y
      - .offset:         54
        .size:           2
        .value_kind:     hidden_remainder_z
      - .offset:         72
        .size:           8
        .value_kind:     hidden_global_offset_x
      - .offset:         80
        .size:           8
        .value_kind:     hidden_global_offset_y
      - .offset:         88
        .size:           8
        .value_kind:     hidden_global_offset_z
      - .offset:         96
        .size:           2
        .value_kind:     hidden_grid_dims
    .group_segment_fixed_size: 0
    .kernarg_segment_align: 8
    .kernarg_segment_size: 288
    .language:       OpenCL C
    .language_version:
      - 2
      - 0
    .max_flat_workgroup_size: 1024
    .name:           _Z21silu_backward_kernel3PKfS0_Pfm
    .private_segment_fixed_size: 0
    .sgpr_count:     22
    .sgpr_spill_count: 0
    .symbol:         _Z21silu_backward_kernel3PKfS0_Pfm.kd
    .uniform_work_group_size: 1
    .uses_dynamic_stack: false
    .vgpr_count:     22
    .vgpr_spill_count: 0
    .wavefront_size: 64
amdhsa.target:   amdgcn-amd-amdhsa--gfx906
amdhsa.version:
  - 1
  - 2
...

	.end_amdgpu_metadata
